;; amdgpu-corpus repo=ROCm/rocFFT kind=compiled arch=gfx906 opt=O3
	.text
	.amdgcn_target "amdgcn-amd-amdhsa--gfx906"
	.amdhsa_code_object_version 6
	.protected	fft_rtc_back_len512_factors_8_8_8_wgs_64_tpt_64_halfLds_dp_ip_CI_unitstride_sbrr_dirReg ; -- Begin function fft_rtc_back_len512_factors_8_8_8_wgs_64_tpt_64_halfLds_dp_ip_CI_unitstride_sbrr_dirReg
	.globl	fft_rtc_back_len512_factors_8_8_8_wgs_64_tpt_64_halfLds_dp_ip_CI_unitstride_sbrr_dirReg
	.p2align	8
	.type	fft_rtc_back_len512_factors_8_8_8_wgs_64_tpt_64_halfLds_dp_ip_CI_unitstride_sbrr_dirReg,@function
fft_rtc_back_len512_factors_8_8_8_wgs_64_tpt_64_halfLds_dp_ip_CI_unitstride_sbrr_dirReg: ; @fft_rtc_back_len512_factors_8_8_8_wgs_64_tpt_64_halfLds_dp_ip_CI_unitstride_sbrr_dirReg
; %bb.0:
	s_load_dwordx4 s[8:11], s[4:5], 0x0
	s_load_dwordx2 s[2:3], s[4:5], 0x50
	s_load_dwordx2 s[12:13], s[4:5], 0x18
	v_mov_b32_e32 v3, 0
	v_mov_b32_e32 v1, 0
	s_waitcnt lgkmcnt(0)
	v_cmp_lt_u64_e64 s[0:1], s[10:11], 2
	v_mov_b32_e32 v5, s6
	v_mov_b32_e32 v6, v3
	s_and_b64 vcc, exec, s[0:1]
	v_mov_b32_e32 v2, 0
	s_cbranch_vccnz .LBB0_8
; %bb.1:
	s_load_dwordx2 s[0:1], s[4:5], 0x10
	s_add_u32 s6, s12, 8
	s_addc_u32 s7, s13, 0
	v_mov_b32_e32 v1, 0
	v_mov_b32_e32 v2, 0
	s_waitcnt lgkmcnt(0)
	s_add_u32 s14, s0, 8
	s_addc_u32 s15, s1, 0
	s_mov_b64 s[16:17], 1
.LBB0_2:                                ; =>This Inner Loop Header: Depth=1
	s_load_dwordx2 s[18:19], s[14:15], 0x0
                                        ; implicit-def: $vgpr7_vgpr8
	s_waitcnt lgkmcnt(0)
	v_or_b32_e32 v4, s19, v6
	v_cmp_ne_u64_e32 vcc, 0, v[3:4]
	s_and_saveexec_b64 s[0:1], vcc
	s_xor_b64 s[20:21], exec, s[0:1]
	s_cbranch_execz .LBB0_4
; %bb.3:                                ;   in Loop: Header=BB0_2 Depth=1
	v_cvt_f32_u32_e32 v4, s18
	v_cvt_f32_u32_e32 v7, s19
	s_sub_u32 s0, 0, s18
	s_subb_u32 s1, 0, s19
	v_mac_f32_e32 v4, 0x4f800000, v7
	v_rcp_f32_e32 v4, v4
	v_mul_f32_e32 v4, 0x5f7ffffc, v4
	v_mul_f32_e32 v7, 0x2f800000, v4
	v_trunc_f32_e32 v7, v7
	v_mac_f32_e32 v4, 0xcf800000, v7
	v_cvt_u32_f32_e32 v7, v7
	v_cvt_u32_f32_e32 v4, v4
	v_mul_lo_u32 v8, s0, v7
	v_mul_hi_u32 v9, s0, v4
	v_mul_lo_u32 v11, s1, v4
	v_mul_lo_u32 v10, s0, v4
	v_add_u32_e32 v8, v9, v8
	v_add_u32_e32 v8, v8, v11
	v_mul_hi_u32 v9, v4, v10
	v_mul_lo_u32 v11, v4, v8
	v_mul_hi_u32 v13, v4, v8
	v_mul_hi_u32 v12, v7, v10
	v_mul_lo_u32 v10, v7, v10
	v_mul_hi_u32 v14, v7, v8
	v_add_co_u32_e32 v9, vcc, v9, v11
	v_addc_co_u32_e32 v11, vcc, 0, v13, vcc
	v_mul_lo_u32 v8, v7, v8
	v_add_co_u32_e32 v9, vcc, v9, v10
	v_addc_co_u32_e32 v9, vcc, v11, v12, vcc
	v_addc_co_u32_e32 v10, vcc, 0, v14, vcc
	v_add_co_u32_e32 v8, vcc, v9, v8
	v_addc_co_u32_e32 v9, vcc, 0, v10, vcc
	v_add_co_u32_e32 v4, vcc, v4, v8
	v_addc_co_u32_e32 v7, vcc, v7, v9, vcc
	v_mul_lo_u32 v8, s0, v7
	v_mul_hi_u32 v9, s0, v4
	v_mul_lo_u32 v10, s1, v4
	v_mul_lo_u32 v11, s0, v4
	v_add_u32_e32 v8, v9, v8
	v_add_u32_e32 v8, v8, v10
	v_mul_lo_u32 v12, v4, v8
	v_mul_hi_u32 v13, v4, v11
	v_mul_hi_u32 v14, v4, v8
	;; [unrolled: 1-line block ×3, first 2 shown]
	v_mul_lo_u32 v11, v7, v11
	v_mul_hi_u32 v9, v7, v8
	v_add_co_u32_e32 v12, vcc, v13, v12
	v_addc_co_u32_e32 v13, vcc, 0, v14, vcc
	v_mul_lo_u32 v8, v7, v8
	v_add_co_u32_e32 v11, vcc, v12, v11
	v_addc_co_u32_e32 v10, vcc, v13, v10, vcc
	v_addc_co_u32_e32 v9, vcc, 0, v9, vcc
	v_add_co_u32_e32 v8, vcc, v10, v8
	v_addc_co_u32_e32 v9, vcc, 0, v9, vcc
	v_add_co_u32_e32 v4, vcc, v4, v8
	v_addc_co_u32_e32 v9, vcc, v7, v9, vcc
	v_mad_u64_u32 v[7:8], s[0:1], v5, v9, 0
	v_mul_hi_u32 v10, v5, v4
	v_add_co_u32_e32 v11, vcc, v10, v7
	v_addc_co_u32_e32 v12, vcc, 0, v8, vcc
	v_mad_u64_u32 v[7:8], s[0:1], v6, v4, 0
	v_mad_u64_u32 v[9:10], s[0:1], v6, v9, 0
	v_add_co_u32_e32 v4, vcc, v11, v7
	v_addc_co_u32_e32 v4, vcc, v12, v8, vcc
	v_addc_co_u32_e32 v7, vcc, 0, v10, vcc
	v_add_co_u32_e32 v4, vcc, v4, v9
	v_addc_co_u32_e32 v9, vcc, 0, v7, vcc
	v_mul_lo_u32 v10, s19, v4
	v_mul_lo_u32 v11, s18, v9
	v_mad_u64_u32 v[7:8], s[0:1], s18, v4, 0
	v_add3_u32 v8, v8, v11, v10
	v_sub_u32_e32 v10, v6, v8
	v_mov_b32_e32 v11, s19
	v_sub_co_u32_e32 v7, vcc, v5, v7
	v_subb_co_u32_e64 v10, s[0:1], v10, v11, vcc
	v_subrev_co_u32_e64 v11, s[0:1], s18, v7
	v_subbrev_co_u32_e64 v10, s[0:1], 0, v10, s[0:1]
	v_cmp_le_u32_e64 s[0:1], s19, v10
	v_cndmask_b32_e64 v12, 0, -1, s[0:1]
	v_cmp_le_u32_e64 s[0:1], s18, v11
	v_cndmask_b32_e64 v11, 0, -1, s[0:1]
	v_cmp_eq_u32_e64 s[0:1], s19, v10
	v_cndmask_b32_e64 v10, v12, v11, s[0:1]
	v_add_co_u32_e64 v11, s[0:1], 2, v4
	v_addc_co_u32_e64 v12, s[0:1], 0, v9, s[0:1]
	v_add_co_u32_e64 v13, s[0:1], 1, v4
	v_addc_co_u32_e64 v14, s[0:1], 0, v9, s[0:1]
	v_subb_co_u32_e32 v8, vcc, v6, v8, vcc
	v_cmp_ne_u32_e64 s[0:1], 0, v10
	v_cmp_le_u32_e32 vcc, s19, v8
	v_cndmask_b32_e64 v10, v14, v12, s[0:1]
	v_cndmask_b32_e64 v12, 0, -1, vcc
	v_cmp_le_u32_e32 vcc, s18, v7
	v_cndmask_b32_e64 v7, 0, -1, vcc
	v_cmp_eq_u32_e32 vcc, s19, v8
	v_cndmask_b32_e32 v7, v12, v7, vcc
	v_cmp_ne_u32_e32 vcc, 0, v7
	v_cndmask_b32_e64 v7, v13, v11, s[0:1]
	v_cndmask_b32_e32 v8, v9, v10, vcc
	v_cndmask_b32_e32 v7, v4, v7, vcc
.LBB0_4:                                ;   in Loop: Header=BB0_2 Depth=1
	s_andn2_saveexec_b64 s[0:1], s[20:21]
	s_cbranch_execz .LBB0_6
; %bb.5:                                ;   in Loop: Header=BB0_2 Depth=1
	v_cvt_f32_u32_e32 v4, s18
	s_sub_i32 s20, 0, s18
	v_rcp_iflag_f32_e32 v4, v4
	v_mul_f32_e32 v4, 0x4f7ffffe, v4
	v_cvt_u32_f32_e32 v4, v4
	v_mul_lo_u32 v7, s20, v4
	v_mul_hi_u32 v7, v4, v7
	v_add_u32_e32 v4, v4, v7
	v_mul_hi_u32 v4, v5, v4
	v_mul_lo_u32 v7, v4, s18
	v_add_u32_e32 v8, 1, v4
	v_sub_u32_e32 v7, v5, v7
	v_subrev_u32_e32 v9, s18, v7
	v_cmp_le_u32_e32 vcc, s18, v7
	v_cndmask_b32_e32 v7, v7, v9, vcc
	v_cndmask_b32_e32 v4, v4, v8, vcc
	v_add_u32_e32 v8, 1, v4
	v_cmp_le_u32_e32 vcc, s18, v7
	v_cndmask_b32_e32 v7, v4, v8, vcc
	v_mov_b32_e32 v8, v3
.LBB0_6:                                ;   in Loop: Header=BB0_2 Depth=1
	s_or_b64 exec, exec, s[0:1]
	v_mul_lo_u32 v4, v8, s18
	v_mul_lo_u32 v11, v7, s19
	v_mad_u64_u32 v[9:10], s[0:1], v7, s18, 0
	s_load_dwordx2 s[0:1], s[6:7], 0x0
	s_add_u32 s16, s16, 1
	v_add3_u32 v4, v10, v11, v4
	v_sub_co_u32_e32 v5, vcc, v5, v9
	v_subb_co_u32_e32 v4, vcc, v6, v4, vcc
	s_waitcnt lgkmcnt(0)
	v_mul_lo_u32 v4, s0, v4
	v_mul_lo_u32 v6, s1, v5
	v_mad_u64_u32 v[1:2], s[0:1], s0, v5, v[1:2]
	s_addc_u32 s17, s17, 0
	s_add_u32 s6, s6, 8
	v_add3_u32 v2, v6, v2, v4
	v_mov_b32_e32 v4, s10
	v_mov_b32_e32 v5, s11
	s_addc_u32 s7, s7, 0
	v_cmp_ge_u64_e32 vcc, s[16:17], v[4:5]
	s_add_u32 s14, s14, 8
	s_addc_u32 s15, s15, 0
	s_cbranch_vccnz .LBB0_9
; %bb.7:                                ;   in Loop: Header=BB0_2 Depth=1
	v_mov_b32_e32 v5, v7
	v_mov_b32_e32 v6, v8
	s_branch .LBB0_2
.LBB0_8:
	v_mov_b32_e32 v8, v6
	v_mov_b32_e32 v7, v5
.LBB0_9:
	s_lshl_b64 s[0:1], s[10:11], 3
	s_add_u32 s0, s12, s0
	s_addc_u32 s1, s13, s1
	s_load_dwordx2 s[6:7], s[0:1], 0x0
	s_load_dwordx2 s[10:11], s[4:5], 0x20
	v_mov_b32_e32 v35, 0
                                        ; implicit-def: $vgpr23_vgpr24
                                        ; implicit-def: $vgpr27_vgpr28
                                        ; implicit-def: $vgpr31_vgpr32
                                        ; implicit-def: $vgpr19_vgpr20
                                        ; implicit-def: $vgpr11_vgpr12
                                        ; implicit-def: $vgpr15_vgpr16
	s_waitcnt lgkmcnt(0)
	v_mul_lo_u32 v3, s6, v8
	v_mul_lo_u32 v4, s7, v7
	v_mad_u64_u32 v[1:2], s[0:1], s6, v7, v[1:2]
	v_cmp_gt_u64_e32 vcc, s[10:11], v[7:8]
                                        ; implicit-def: $vgpr7_vgpr8
	v_add3_u32 v2, v4, v2, v3
	v_lshlrev_b64 v[33:34], 4, v[1:2]
                                        ; implicit-def: $vgpr3_vgpr4
	s_and_saveexec_b64 s[4:5], vcc
	s_cbranch_execz .LBB0_11
; %bb.10:
	v_mov_b32_e32 v1, s3
	v_add_co_u32_e64 v2, s[0:1], s2, v33
	v_addc_co_u32_e64 v1, s[0:1], v1, v34, s[0:1]
	v_lshlrev_b32_e32 v3, 4, v0
	v_add_co_u32_e64 v35, s[0:1], v2, v3
	v_addc_co_u32_e64 v36, s[0:1], 0, v1, s[0:1]
	v_or_b32_e32 v4, 0x1000, v3
	v_add_co_u32_e64 v37, s[0:1], v2, v4
	v_addc_co_u32_e64 v38, s[0:1], 0, v1, s[0:1]
	v_or_b32_e32 v4, 0x1400, v3
	;; [unrolled: 3-line block ×4, first 2 shown]
	v_add_co_u32_e64 v43, s[0:1], v2, v3
	v_addc_co_u32_e64 v44, s[0:1], 0, v1, s[0:1]
	global_load_dwordx4 v[13:16], v[35:36], off
	global_load_dwordx4 v[1:4], v[35:36], off offset:1024
	global_load_dwordx4 v[9:12], v[35:36], off offset:2048
	;; [unrolled: 1-line block ×3, first 2 shown]
	global_load_dwordx4 v[21:24], v[37:38], off
	global_load_dwordx4 v[17:20], v[39:40], off
	global_load_dwordx4 v[25:28], v[41:42], off
	global_load_dwordx4 v[29:32], v[43:44], off
	v_mov_b32_e32 v35, v0
.LBB0_11:
	s_or_b64 exec, exec, s[4:5]
	s_waitcnt vmcnt(3)
	v_add_f64 v[21:22], v[13:14], -v[21:22]
	s_waitcnt vmcnt(1)
	v_add_f64 v[25:26], v[9:10], -v[25:26]
	;; [unrolled: 2-line block ×3, first 2 shown]
	v_add_f64 v[17:18], v[1:2], -v[17:18]
	v_add_f64 v[23:24], v[15:16], -v[23:24]
	;; [unrolled: 1-line block ×5, first 2 shown]
	v_fma_f64 v[13:14], v[13:14], 2.0, -v[21:22]
	v_fma_f64 v[9:10], v[9:10], 2.0, -v[25:26]
	;; [unrolled: 1-line block ×6, first 2 shown]
	v_add_f64 v[27:28], v[27:28], v[21:22]
	v_add_f64 v[36:37], v[31:32], v[17:18]
	v_fma_f64 v[3:4], v[3:4], 2.0, -v[19:20]
	v_add_f64 v[38:39], v[13:14], -v[9:10]
	v_add_f64 v[9:10], v[19:20], -v[29:30]
	;; [unrolled: 1-line block ×3, first 2 shown]
	v_fma_f64 v[5:6], v[7:8], 2.0, -v[31:32]
	v_add_f64 v[30:31], v[23:24], -v[25:26]
	v_fma_f64 v[21:22], v[21:22], 2.0, -v[27:28]
	v_fma_f64 v[17:18], v[17:18], 2.0, -v[36:37]
	v_add_f64 v[42:43], v[15:16], -v[11:12]
	s_mov_b32 s0, 0x667f3bcd
	v_fma_f64 v[7:8], v[19:20], 2.0, -v[9:10]
	s_mov_b32 s1, 0xbfe6a09e
	v_add_f64 v[5:6], v[3:4], -v[5:6]
	v_fma_f64 v[44:45], v[23:24], 2.0, -v[30:31]
	s_mov_b32 s5, 0x3fe6a09e
	s_mov_b32 s4, s0
	v_fma_f64 v[25:26], v[13:14], 2.0, -v[38:39]
	v_fma_f64 v[1:2], v[1:2], 2.0, -v[40:41]
	v_fma_f64 v[11:12], v[17:18], s[0:1], v[21:22]
	v_fma_f64 v[46:47], v[15:16], 2.0, -v[42:43]
	v_fma_f64 v[13:14], v[36:37], s[4:5], v[27:28]
	v_fma_f64 v[15:16], v[7:8], s[0:1], v[44:45]
	v_fma_f64 v[19:20], v[3:4], 2.0, -v[5:6]
	v_fma_f64 v[23:24], v[9:10], s[4:5], v[30:31]
	v_add_f64 v[5:6], v[5:6], v[38:39]
	v_add_f64 v[1:2], v[25:26], -v[1:2]
	v_fma_f64 v[3:4], v[7:8], s[4:5], v[11:12]
	s_movk_i32 s6, 0xffc8
	v_fma_f64 v[7:8], v[9:10], s[4:5], v[13:14]
	v_fma_f64 v[11:12], v[17:18], s[0:1], v[15:16]
	v_add_f64 v[9:10], v[46:47], -v[19:20]
	v_fma_f64 v[15:16], v[36:37], s[0:1], v[23:24]
	v_add_f64 v[13:14], v[42:43], -v[40:41]
	v_fma_f64 v[18:19], v[25:26], 2.0, -v[1:2]
	v_fma_f64 v[20:21], v[21:22], 2.0, -v[3:4]
	;; [unrolled: 1-line block ×8, first 2 shown]
	v_lshl_add_u32 v17, v0, 6, 0
	v_mad_i32_i24 v32, v0, s6, v17
	ds_write_b128 v17, v[18:21]
	ds_write_b128 v17, v[22:25] offset:16
	ds_write_b128 v17, v[1:4] offset:32
	;; [unrolled: 1-line block ×3, first 2 shown]
	s_waitcnt lgkmcnt(0)
	; wave barrier
	s_waitcnt lgkmcnt(0)
	ds_read2st64_b64 v[1:4], v32 offset1:1
	ds_read2st64_b64 v[5:8], v32 offset0:2 offset1:3
	ds_read2st64_b64 v[18:21], v32 offset0:4 offset1:5
	;; [unrolled: 1-line block ×3, first 2 shown]
	s_waitcnt lgkmcnt(0)
	; wave barrier
	s_waitcnt lgkmcnt(0)
	ds_write_b128 v17, v[26:29]
	ds_write_b128 v17, v[36:39] offset:16
	ds_write_b128 v17, v[9:12] offset:32
	;; [unrolled: 1-line block ×3, first 2 shown]
	v_and_b32_e32 v9, 7, v0
	v_mul_u32_u24_e32 v9, 7, v9
	v_lshlrev_b32_e32 v30, 4, v9
	s_waitcnt lgkmcnt(0)
	; wave barrier
	s_waitcnt lgkmcnt(0)
	global_load_dwordx4 v[9:12], v30, s[8:9] offset:16
	global_load_dwordx4 v[13:16], v30, s[8:9] offset:32
	global_load_dwordx4 v[26:29], v30, s[8:9] offset:48
	global_load_dwordx4 v[36:39], v30, s[8:9] offset:64
	global_load_dwordx4 v[40:43], v30, s[8:9] offset:80
	global_load_dwordx4 v[44:47], v30, s[8:9] offset:96
	global_load_dwordx4 v[48:51], v30, s[8:9]
	ds_read2st64_b64 v[52:55], v32 offset0:2 offset1:3
	ds_read2st64_b64 v[56:59], v32 offset1:1
	s_waitcnt vmcnt(6) lgkmcnt(1)
	v_mul_f64 v[30:31], v[52:53], v[11:12]
	v_mul_f64 v[11:12], v[5:6], v[11:12]
	v_fma_f64 v[30:31], v[5:6], v[9:10], v[30:31]
	s_waitcnt vmcnt(5)
	v_mul_f64 v[5:6], v[54:55], v[15:16]
	v_fma_f64 v[52:53], v[52:53], v[9:10], -v[11:12]
	v_mul_f64 v[9:10], v[7:8], v[15:16]
	v_fma_f64 v[15:16], v[7:8], v[13:14], v[5:6]
	ds_read2st64_b64 v[5:8], v32 offset0:4 offset1:5
	v_fma_f64 v[13:14], v[54:55], v[13:14], -v[9:10]
	ds_read2st64_b64 v[9:12], v32 offset0:6 offset1:7
	s_waitcnt lgkmcnt(0)
	; wave barrier
	s_waitcnt vmcnt(4) lgkmcnt(0)
	v_mul_f64 v[54:55], v[5:6], v[28:29]
	v_mul_f64 v[28:29], v[18:19], v[28:29]
	v_fma_f64 v[18:19], v[18:19], v[26:27], v[54:55]
	v_fma_f64 v[5:6], v[5:6], v[26:27], -v[28:29]
	s_waitcnt vmcnt(3)
	v_mul_f64 v[26:27], v[7:8], v[38:39]
	v_mul_f64 v[28:29], v[20:21], v[38:39]
	v_lshl_or_b32 v38, v0, 3, v0
	v_and_b32_e32 v54, 0x1c7, v38
	s_waitcnt vmcnt(1)
	v_mul_f64 v[38:39], v[11:12], v[46:47]
	v_add_f64 v[18:19], v[1:2], -v[18:19]
	v_add_f64 v[5:6], v[56:57], -v[5:6]
	v_fma_f64 v[20:21], v[20:21], v[36:37], v[26:27]
	v_mul_f64 v[26:27], v[22:23], v[42:43]
	v_fma_f64 v[7:8], v[7:8], v[36:37], -v[28:29]
	v_mul_f64 v[28:29], v[24:25], v[46:47]
	s_waitcnt vmcnt(0)
	v_mul_f64 v[36:37], v[58:59], v[50:51]
	v_mul_f64 v[42:43], v[9:10], v[42:43]
	;; [unrolled: 1-line block ×3, first 2 shown]
	v_fma_f64 v[24:25], v[24:25], v[44:45], v[38:39]
	v_fma_f64 v[1:2], v[1:2], 2.0, -v[18:19]
	v_fma_f64 v[9:10], v[9:10], v[40:41], -v[26:27]
	v_lshl_add_u32 v50, v54, 3, 0
	v_fma_f64 v[11:12], v[11:12], v[44:45], -v[28:29]
	v_fma_f64 v[3:4], v[3:4], v[48:49], v[36:37]
	v_fma_f64 v[22:23], v[22:23], v[40:41], v[42:43]
	v_fma_f64 v[26:27], v[58:59], v[48:49], -v[46:47]
	v_add_f64 v[24:25], v[15:16], -v[24:25]
	v_fma_f64 v[28:29], v[56:57], 2.0, -v[5:6]
	v_add_f64 v[9:10], v[52:53], -v[9:10]
	v_add_f64 v[11:12], v[13:14], -v[11:12]
	;; [unrolled: 1-line block ×5, first 2 shown]
	v_fma_f64 v[15:16], v[15:16], 2.0, -v[24:25]
	v_fma_f64 v[36:37], v[52:53], 2.0, -v[9:10]
	v_add_f64 v[9:10], v[18:19], v[9:10]
	v_add_f64 v[38:39], v[20:21], v[11:12]
	v_fma_f64 v[30:31], v[30:31], 2.0, -v[22:23]
	v_fma_f64 v[3:4], v[3:4], 2.0, -v[20:21]
	v_add_f64 v[24:25], v[7:8], -v[24:25]
	v_add_f64 v[22:23], v[5:6], -v[22:23]
	v_fma_f64 v[11:12], v[13:14], 2.0, -v[11:12]
	v_fma_f64 v[13:14], v[26:27], 2.0, -v[7:8]
	;; [unrolled: 1-line block ×4, first 2 shown]
	v_add_f64 v[26:27], v[1:2], -v[30:31]
	v_add_f64 v[15:16], v[3:4], -v[15:16]
	v_fma_f64 v[7:8], v[7:8], 2.0, -v[24:25]
	v_fma_f64 v[5:6], v[5:6], 2.0, -v[22:23]
	v_add_f64 v[30:31], v[28:29], -v[36:37]
	v_add_f64 v[11:12], v[13:14], -v[11:12]
	v_fma_f64 v[36:37], v[38:39], s[4:5], v[9:10]
	v_fma_f64 v[40:41], v[20:21], s[0:1], v[18:19]
	v_fma_f64 v[1:2], v[1:2], 2.0, -v[26:27]
	v_fma_f64 v[3:4], v[3:4], 2.0, -v[15:16]
	v_fma_f64 v[42:43], v[24:25], s[4:5], v[22:23]
	v_fma_f64 v[44:45], v[7:8], s[0:1], v[5:6]
	v_fma_f64 v[28:29], v[28:29], 2.0, -v[30:31]
	v_fma_f64 v[13:14], v[13:14], 2.0, -v[11:12]
	v_add_f64 v[11:12], v[26:27], v[11:12]
	v_fma_f64 v[24:25], v[24:25], s[4:5], v[36:37]
	v_fma_f64 v[7:8], v[7:8], s[4:5], v[40:41]
	v_add_f64 v[3:4], v[1:2], -v[3:4]
	v_add_f64 v[36:37], v[30:31], -v[15:16]
	v_fma_f64 v[20:21], v[20:21], s[0:1], v[44:45]
	v_fma_f64 v[38:39], v[38:39], s[0:1], v[42:43]
	v_add_f64 v[40:41], v[28:29], -v[13:14]
	v_fma_f64 v[13:14], v[26:27], 2.0, -v[11:12]
	v_fma_f64 v[9:10], v[9:10], 2.0, -v[24:25]
	;; [unrolled: 1-line block ×4, first 2 shown]
	ds_write2_b64 v50, v[11:12], v[24:25] offset0:48 offset1:56
	v_fma_f64 v[26:27], v[5:6], 2.0, -v[20:21]
	v_fma_f64 v[18:19], v[30:31], 2.0, -v[36:37]
	;; [unrolled: 1-line block ×4, first 2 shown]
	ds_write2_b64 v50, v[13:14], v[9:10] offset0:16 offset1:24
	ds_write2_b64 v50, v[3:4], v[7:8] offset0:32 offset1:40
	ds_write2_b64 v50, v[1:2], v[15:16] offset1:8
	s_waitcnt lgkmcnt(0)
	; wave barrier
	s_waitcnt lgkmcnt(0)
	ds_read2st64_b64 v[1:4], v32 offset1:1
	ds_read2st64_b64 v[13:16], v32 offset0:2 offset1:3
	ds_read2st64_b64 v[5:8], v32 offset0:4 offset1:5
	;; [unrolled: 1-line block ×3, first 2 shown]
	s_waitcnt lgkmcnt(0)
	; wave barrier
	s_waitcnt lgkmcnt(0)
	ds_write2_b64 v50, v[24:25], v[26:27] offset1:8
	ds_write2_b64 v50, v[18:19], v[22:23] offset0:16 offset1:24
	ds_write2_b64 v50, v[40:41], v[20:21] offset0:32 offset1:40
	;; [unrolled: 1-line block ×3, first 2 shown]
	s_waitcnt lgkmcnt(0)
	; wave barrier
	s_waitcnt lgkmcnt(0)
	s_and_saveexec_b64 s[6:7], vcc
	s_cbranch_execz .LBB0_13
; %bb.12:
	v_mul_u32_u24_e32 v18, 7, v0
	v_lshlrev_b32_e32 v30, 4, v18
	global_load_dwordx4 v[18:21], v30, s[8:9] offset:928
	global_load_dwordx4 v[22:25], v30, s[8:9] offset:912
	;; [unrolled: 1-line block ×7, first 2 shown]
	v_mul_i32_i24_e32 v0, 0xffffffc8, v0
	v_add_u32_e32 v0, v17, v0
	ds_read2st64_b64 v[52:55], v0 offset0:2 offset1:3
	v_mov_b32_e32 v32, s3
	v_add_co_u32_e32 v63, vcc, s2, v33
	v_lshlrev_b32_e32 v62, 4, v35
	v_addc_co_u32_e32 v64, vcc, v32, v34, vcc
	s_waitcnt vmcnt(6)
	v_mul_f64 v[30:31], v[15:16], v[18:19]
	v_mul_f64 v[56:57], v[15:16], v[20:21]
	s_waitcnt vmcnt(5)
	v_mul_f64 v[58:59], v[13:14], v[22:23]
	v_mul_f64 v[60:61], v[13:14], v[24:25]
	ds_read2st64_b64 v[13:16], v0 offset1:1
	s_waitcnt vmcnt(4)
	v_mul_f64 v[34:35], v[11:12], v[26:27]
	s_waitcnt lgkmcnt(1)
	v_fma_f64 v[30:31], v[54:55], v[20:21], v[30:31]
	v_fma_f64 v[32:33], v[54:55], v[18:19], -v[56:57]
	v_mul_f64 v[54:55], v[11:12], v[28:29]
	v_fma_f64 v[24:25], v[52:53], v[24:25], v[58:59]
	v_fma_f64 v[21:22], v[52:53], v[22:23], -v[60:61]
	s_waitcnt vmcnt(3)
	v_mul_f64 v[52:53], v[9:10], v[36:37]
	v_mul_f64 v[56:57], v[9:10], v[38:39]
	ds_read2st64_b64 v[17:20], v0 offset0:6 offset1:7
	ds_read2st64_b64 v[9:12], v0 offset0:4 offset1:5
	v_or_b32_e32 v23, 0x1000, v62
	v_or_b32_e32 v0, 0x1400, v62
	;; [unrolled: 1-line block ×3, first 2 shown]
	s_waitcnt lgkmcnt(1)
	v_fma_f64 v[28:29], v[19:20], v[28:29], v[34:35]
	v_fma_f64 v[19:20], v[19:20], v[26:27], -v[54:55]
	v_fma_f64 v[26:27], v[17:18], v[38:39], v[52:53]
	v_fma_f64 v[17:18], v[17:18], v[36:37], -v[56:57]
	s_waitcnt vmcnt(2)
	v_mul_f64 v[34:35], v[7:8], v[42:43]
	s_waitcnt lgkmcnt(0)
	v_mul_f64 v[36:37], v[11:12], v[42:43]
	s_waitcnt vmcnt(1)
	v_mul_f64 v[38:39], v[5:6], v[46:47]
	s_waitcnt vmcnt(0)
	v_mul_f64 v[52:53], v[3:4], v[50:51]
	v_add_f64 v[28:29], v[30:31], -v[28:29]
	v_add_f64 v[19:20], v[32:33], -v[19:20]
	;; [unrolled: 1-line block ×4, first 2 shown]
	v_fma_f64 v[11:12], v[11:12], v[40:41], -v[34:35]
	v_fma_f64 v[7:8], v[7:8], v[40:41], v[36:37]
	v_mul_f64 v[34:35], v[15:16], v[50:51]
	v_mul_f64 v[36:37], v[9:10], v[46:47]
	v_fma_f64 v[9:10], v[9:10], v[44:45], -v[38:39]
	v_fma_f64 v[15:16], v[15:16], v[48:49], -v[52:53]
	v_add_co_u32_e32 v42, vcc, v63, v62
	v_addc_co_u32_e32 v43, vcc, 0, v64, vcc
	v_fma_f64 v[3:4], v[3:4], v[48:49], v[34:35]
	v_fma_f64 v[5:6], v[5:6], v[44:45], v[36:37]
	v_add_f64 v[9:10], v[13:14], -v[9:10]
	v_add_f64 v[11:12], v[15:16], -v[11:12]
	v_add_co_u32_e32 v38, vcc, v63, v23
	v_addc_co_u32_e32 v39, vcc, 0, v64, vcc
	v_add_f64 v[7:8], v[3:4], -v[7:8]
	v_add_f64 v[5:6], v[1:2], -v[5:6]
	v_add_co_u32_e32 v34, vcc, v63, v0
	v_add_f64 v[40:41], v[9:10], -v[26:27]
	v_add_f64 v[44:45], v[11:12], -v[28:29]
	v_fma_f64 v[13:14], v[13:14], 2.0, -v[9:10]
	v_fma_f64 v[21:22], v[21:22], 2.0, -v[17:18]
	v_add_f64 v[46:47], v[7:8], v[19:20]
	v_add_f64 v[48:49], v[5:6], v[17:18]
	v_fma_f64 v[3:4], v[3:4], 2.0, -v[7:8]
	v_fma_f64 v[0:1], v[1:2], 2.0, -v[5:6]
	;; [unrolled: 1-line block ×10, first 2 shown]
	v_add_f64 v[21:22], v[13:14], -v[21:22]
	v_add_f64 v[10:11], v[15:16], -v[17:18]
	;; [unrolled: 1-line block ×4, first 2 shown]
	v_fma_f64 v[17:18], v[44:45], s[4:5], v[40:41]
	v_fma_f64 v[19:20], v[46:47], s[4:5], v[48:49]
	v_or_b32_e32 v54, 0x1800, v62
	v_addc_co_u32_e32 v35, vcc, 0, v64, vcc
	v_add_co_u32_e32 v36, vcc, v63, v54
	v_fma_f64 v[23:24], v[27:28], s[0:1], v[25:26]
	v_fma_f64 v[50:51], v[8:9], s[0:1], v[29:30]
	v_fma_f64 v[52:53], v[13:14], 2.0, -v[21:22]
	v_fma_f64 v[12:13], v[15:16], 2.0, -v[10:11]
	;; [unrolled: 1-line block ×4, first 2 shown]
	v_add_f64 v[6:7], v[21:22], -v[5:6]
	v_add_f64 v[4:5], v[31:32], v[10:11]
	v_fma_f64 v[2:3], v[46:47], s[0:1], v[17:18]
	v_fma_f64 v[0:1], v[44:45], s[4:5], v[19:20]
	;; [unrolled: 1-line block ×4, first 2 shown]
	v_add_f64 v[14:15], v[52:53], -v[12:13]
	v_add_f64 v[12:13], v[54:55], -v[56:57]
	v_fma_f64 v[22:23], v[21:22], 2.0, -v[6:7]
	v_fma_f64 v[20:21], v[31:32], 2.0, -v[4:5]
	;; [unrolled: 1-line block ×8, first 2 shown]
	v_addc_co_u32_e32 v37, vcc, 0, v64, vcc
	v_add_co_u32_e32 v32, vcc, v63, v58
	v_addc_co_u32_e32 v33, vcc, 0, v64, vcc
	global_store_dwordx4 v[36:37], v[4:7], off
	global_store_dwordx4 v[42:43], v[20:23], off offset:2048
	global_store_dwordx4 v[42:43], v[16:19], off offset:3072
	global_store_dwordx4 v[38:39], v[12:15], off
	global_store_dwordx4 v[34:35], v[8:11], off
	;; [unrolled: 1-line block ×3, first 2 shown]
	global_store_dwordx4 v[42:43], v[24:27], off offset:1024
	global_store_dwordx4 v[32:33], v[0:3], off
.LBB0_13:
	s_endpgm
	.section	.rodata,"a",@progbits
	.p2align	6, 0x0
	.amdhsa_kernel fft_rtc_back_len512_factors_8_8_8_wgs_64_tpt_64_halfLds_dp_ip_CI_unitstride_sbrr_dirReg
		.amdhsa_group_segment_fixed_size 0
		.amdhsa_private_segment_fixed_size 0
		.amdhsa_kernarg_size 88
		.amdhsa_user_sgpr_count 6
		.amdhsa_user_sgpr_private_segment_buffer 1
		.amdhsa_user_sgpr_dispatch_ptr 0
		.amdhsa_user_sgpr_queue_ptr 0
		.amdhsa_user_sgpr_kernarg_segment_ptr 1
		.amdhsa_user_sgpr_dispatch_id 0
		.amdhsa_user_sgpr_flat_scratch_init 0
		.amdhsa_user_sgpr_private_segment_size 0
		.amdhsa_uses_dynamic_stack 0
		.amdhsa_system_sgpr_private_segment_wavefront_offset 0
		.amdhsa_system_sgpr_workgroup_id_x 1
		.amdhsa_system_sgpr_workgroup_id_y 0
		.amdhsa_system_sgpr_workgroup_id_z 0
		.amdhsa_system_sgpr_workgroup_info 0
		.amdhsa_system_vgpr_workitem_id 0
		.amdhsa_next_free_vgpr 65
		.amdhsa_next_free_sgpr 22
		.amdhsa_reserve_vcc 1
		.amdhsa_reserve_flat_scratch 0
		.amdhsa_float_round_mode_32 0
		.amdhsa_float_round_mode_16_64 0
		.amdhsa_float_denorm_mode_32 3
		.amdhsa_float_denorm_mode_16_64 3
		.amdhsa_dx10_clamp 1
		.amdhsa_ieee_mode 1
		.amdhsa_fp16_overflow 0
		.amdhsa_exception_fp_ieee_invalid_op 0
		.amdhsa_exception_fp_denorm_src 0
		.amdhsa_exception_fp_ieee_div_zero 0
		.amdhsa_exception_fp_ieee_overflow 0
		.amdhsa_exception_fp_ieee_underflow 0
		.amdhsa_exception_fp_ieee_inexact 0
		.amdhsa_exception_int_div_zero 0
	.end_amdhsa_kernel
	.text
.Lfunc_end0:
	.size	fft_rtc_back_len512_factors_8_8_8_wgs_64_tpt_64_halfLds_dp_ip_CI_unitstride_sbrr_dirReg, .Lfunc_end0-fft_rtc_back_len512_factors_8_8_8_wgs_64_tpt_64_halfLds_dp_ip_CI_unitstride_sbrr_dirReg
                                        ; -- End function
	.section	.AMDGPU.csdata,"",@progbits
; Kernel info:
; codeLenInByte = 3756
; NumSgprs: 26
; NumVgprs: 65
; ScratchSize: 0
; MemoryBound: 1
; FloatMode: 240
; IeeeMode: 1
; LDSByteSize: 0 bytes/workgroup (compile time only)
; SGPRBlocks: 3
; VGPRBlocks: 16
; NumSGPRsForWavesPerEU: 26
; NumVGPRsForWavesPerEU: 65
; Occupancy: 3
; WaveLimiterHint : 1
; COMPUTE_PGM_RSRC2:SCRATCH_EN: 0
; COMPUTE_PGM_RSRC2:USER_SGPR: 6
; COMPUTE_PGM_RSRC2:TRAP_HANDLER: 0
; COMPUTE_PGM_RSRC2:TGID_X_EN: 1
; COMPUTE_PGM_RSRC2:TGID_Y_EN: 0
; COMPUTE_PGM_RSRC2:TGID_Z_EN: 0
; COMPUTE_PGM_RSRC2:TIDIG_COMP_CNT: 0
	.type	__hip_cuid_430f42f25fe4c868,@object ; @__hip_cuid_430f42f25fe4c868
	.section	.bss,"aw",@nobits
	.globl	__hip_cuid_430f42f25fe4c868
__hip_cuid_430f42f25fe4c868:
	.byte	0                               ; 0x0
	.size	__hip_cuid_430f42f25fe4c868, 1

	.ident	"AMD clang version 19.0.0git (https://github.com/RadeonOpenCompute/llvm-project roc-6.4.0 25133 c7fe45cf4b819c5991fe208aaa96edf142730f1d)"
	.section	".note.GNU-stack","",@progbits
	.addrsig
	.addrsig_sym __hip_cuid_430f42f25fe4c868
	.amdgpu_metadata
---
amdhsa.kernels:
  - .args:
      - .actual_access:  read_only
        .address_space:  global
        .offset:         0
        .size:           8
        .value_kind:     global_buffer
      - .offset:         8
        .size:           8
        .value_kind:     by_value
      - .actual_access:  read_only
        .address_space:  global
        .offset:         16
        .size:           8
        .value_kind:     global_buffer
      - .actual_access:  read_only
        .address_space:  global
        .offset:         24
        .size:           8
        .value_kind:     global_buffer
      - .offset:         32
        .size:           8
        .value_kind:     by_value
      - .actual_access:  read_only
        .address_space:  global
        .offset:         40
        .size:           8
        .value_kind:     global_buffer
      - .actual_access:  read_only
        .address_space:  global
        .offset:         48
        .size:           8
        .value_kind:     global_buffer
      - .offset:         56
        .size:           4
        .value_kind:     by_value
      - .actual_access:  read_only
        .address_space:  global
        .offset:         64
        .size:           8
        .value_kind:     global_buffer
      - .actual_access:  read_only
        .address_space:  global
        .offset:         72
        .size:           8
        .value_kind:     global_buffer
      - .address_space:  global
        .offset:         80
        .size:           8
        .value_kind:     global_buffer
    .group_segment_fixed_size: 0
    .kernarg_segment_align: 8
    .kernarg_segment_size: 88
    .language:       OpenCL C
    .language_version:
      - 2
      - 0
    .max_flat_workgroup_size: 64
    .name:           fft_rtc_back_len512_factors_8_8_8_wgs_64_tpt_64_halfLds_dp_ip_CI_unitstride_sbrr_dirReg
    .private_segment_fixed_size: 0
    .sgpr_count:     26
    .sgpr_spill_count: 0
    .symbol:         fft_rtc_back_len512_factors_8_8_8_wgs_64_tpt_64_halfLds_dp_ip_CI_unitstride_sbrr_dirReg.kd
    .uniform_work_group_size: 1
    .uses_dynamic_stack: false
    .vgpr_count:     65
    .vgpr_spill_count: 0
    .wavefront_size: 64
amdhsa.target:   amdgcn-amd-amdhsa--gfx906
amdhsa.version:
  - 1
  - 2
...

	.end_amdgpu_metadata
